;; amdgpu-corpus repo=ROCm/rocFFT kind=compiled arch=gfx1100 opt=O3
	.text
	.amdgcn_target "amdgcn-amd-amdhsa--gfx1100"
	.amdhsa_code_object_version 6
	.protected	fft_rtc_fwd_len810_factors_3_10_3_3_3_wgs_81_tpt_81_halfLds_sp_op_CI_CI_unitstride_sbrr_C2R_dirReg ; -- Begin function fft_rtc_fwd_len810_factors_3_10_3_3_3_wgs_81_tpt_81_halfLds_sp_op_CI_CI_unitstride_sbrr_C2R_dirReg
	.globl	fft_rtc_fwd_len810_factors_3_10_3_3_3_wgs_81_tpt_81_halfLds_sp_op_CI_CI_unitstride_sbrr_C2R_dirReg
	.p2align	8
	.type	fft_rtc_fwd_len810_factors_3_10_3_3_3_wgs_81_tpt_81_halfLds_sp_op_CI_CI_unitstride_sbrr_C2R_dirReg,@function
fft_rtc_fwd_len810_factors_3_10_3_3_3_wgs_81_tpt_81_halfLds_sp_op_CI_CI_unitstride_sbrr_C2R_dirReg: ; @fft_rtc_fwd_len810_factors_3_10_3_3_3_wgs_81_tpt_81_halfLds_sp_op_CI_CI_unitstride_sbrr_C2R_dirReg
; %bb.0:
	s_clause 0x2
	s_load_b128 s[8:11], s[0:1], 0x0
	s_load_b128 s[4:7], s[0:1], 0x58
	;; [unrolled: 1-line block ×3, first 2 shown]
	v_mul_u32_u24_e32 v1, 0x32a, v0
	v_mov_b32_e32 v3, 0
	s_delay_alu instid0(VALU_DEP_2) | instskip(NEXT) | instid1(VALU_DEP_1)
	v_lshrrev_b32_e32 v1, 16, v1
	v_add_nc_u32_e32 v5, s15, v1
	v_mov_b32_e32 v1, 0
	v_mov_b32_e32 v2, 0
	;; [unrolled: 1-line block ×3, first 2 shown]
	s_waitcnt lgkmcnt(0)
	v_cmp_lt_u64_e64 s2, s[10:11], 2
	s_delay_alu instid0(VALU_DEP_1)
	s_and_b32 vcc_lo, exec_lo, s2
	s_cbranch_vccnz .LBB0_8
; %bb.1:
	s_load_b64 s[2:3], s[0:1], 0x10
	v_mov_b32_e32 v1, 0
	v_mov_b32_e32 v2, 0
	s_add_u32 s12, s18, 8
	s_addc_u32 s13, s19, 0
	s_add_u32 s14, s16, 8
	s_addc_u32 s15, s17, 0
	v_dual_mov_b32 v17, v2 :: v_dual_mov_b32 v16, v1
	s_mov_b64 s[22:23], 1
	s_waitcnt lgkmcnt(0)
	s_add_u32 s20, s2, 8
	s_addc_u32 s21, s3, 0
.LBB0_2:                                ; =>This Inner Loop Header: Depth=1
	s_load_b64 s[24:25], s[20:21], 0x0
                                        ; implicit-def: $vgpr18_vgpr19
	s_mov_b32 s2, exec_lo
	s_waitcnt lgkmcnt(0)
	v_or_b32_e32 v4, s25, v6
	s_delay_alu instid0(VALU_DEP_1)
	v_cmpx_ne_u64_e32 0, v[3:4]
	s_xor_b32 s3, exec_lo, s2
	s_cbranch_execz .LBB0_4
; %bb.3:                                ;   in Loop: Header=BB0_2 Depth=1
	v_cvt_f32_u32_e32 v4, s24
	v_cvt_f32_u32_e32 v7, s25
	s_sub_u32 s2, 0, s24
	s_subb_u32 s26, 0, s25
	s_delay_alu instid0(VALU_DEP_1) | instskip(NEXT) | instid1(VALU_DEP_1)
	v_fmac_f32_e32 v4, 0x4f800000, v7
	v_rcp_f32_e32 v4, v4
	s_waitcnt_depctr 0xfff
	v_mul_f32_e32 v4, 0x5f7ffffc, v4
	s_delay_alu instid0(VALU_DEP_1) | instskip(NEXT) | instid1(VALU_DEP_1)
	v_mul_f32_e32 v7, 0x2f800000, v4
	v_trunc_f32_e32 v7, v7
	s_delay_alu instid0(VALU_DEP_1) | instskip(SKIP_1) | instid1(VALU_DEP_2)
	v_fmac_f32_e32 v4, 0xcf800000, v7
	v_cvt_u32_f32_e32 v7, v7
	v_cvt_u32_f32_e32 v4, v4
	s_delay_alu instid0(VALU_DEP_2) | instskip(NEXT) | instid1(VALU_DEP_2)
	v_mul_lo_u32 v8, s2, v7
	v_mul_hi_u32 v9, s2, v4
	v_mul_lo_u32 v10, s26, v4
	s_delay_alu instid0(VALU_DEP_2) | instskip(SKIP_1) | instid1(VALU_DEP_2)
	v_add_nc_u32_e32 v8, v9, v8
	v_mul_lo_u32 v9, s2, v4
	v_add_nc_u32_e32 v8, v8, v10
	s_delay_alu instid0(VALU_DEP_2) | instskip(NEXT) | instid1(VALU_DEP_2)
	v_mul_hi_u32 v10, v4, v9
	v_mul_lo_u32 v11, v4, v8
	v_mul_hi_u32 v12, v4, v8
	v_mul_hi_u32 v13, v7, v9
	v_mul_lo_u32 v9, v7, v9
	v_mul_hi_u32 v14, v7, v8
	v_mul_lo_u32 v8, v7, v8
	v_add_co_u32 v10, vcc_lo, v10, v11
	v_add_co_ci_u32_e32 v11, vcc_lo, 0, v12, vcc_lo
	s_delay_alu instid0(VALU_DEP_2) | instskip(NEXT) | instid1(VALU_DEP_2)
	v_add_co_u32 v9, vcc_lo, v10, v9
	v_add_co_ci_u32_e32 v9, vcc_lo, v11, v13, vcc_lo
	v_add_co_ci_u32_e32 v10, vcc_lo, 0, v14, vcc_lo
	s_delay_alu instid0(VALU_DEP_2) | instskip(NEXT) | instid1(VALU_DEP_2)
	v_add_co_u32 v8, vcc_lo, v9, v8
	v_add_co_ci_u32_e32 v9, vcc_lo, 0, v10, vcc_lo
	s_delay_alu instid0(VALU_DEP_2) | instskip(NEXT) | instid1(VALU_DEP_2)
	v_add_co_u32 v4, vcc_lo, v4, v8
	v_add_co_ci_u32_e32 v7, vcc_lo, v7, v9, vcc_lo
	s_delay_alu instid0(VALU_DEP_2) | instskip(SKIP_1) | instid1(VALU_DEP_3)
	v_mul_hi_u32 v8, s2, v4
	v_mul_lo_u32 v10, s26, v4
	v_mul_lo_u32 v9, s2, v7
	s_delay_alu instid0(VALU_DEP_1) | instskip(SKIP_1) | instid1(VALU_DEP_2)
	v_add_nc_u32_e32 v8, v8, v9
	v_mul_lo_u32 v9, s2, v4
	v_add_nc_u32_e32 v8, v8, v10
	s_delay_alu instid0(VALU_DEP_2) | instskip(NEXT) | instid1(VALU_DEP_2)
	v_mul_hi_u32 v10, v4, v9
	v_mul_lo_u32 v11, v4, v8
	v_mul_hi_u32 v12, v4, v8
	v_mul_hi_u32 v13, v7, v9
	v_mul_lo_u32 v9, v7, v9
	v_mul_hi_u32 v14, v7, v8
	v_mul_lo_u32 v8, v7, v8
	v_add_co_u32 v10, vcc_lo, v10, v11
	v_add_co_ci_u32_e32 v11, vcc_lo, 0, v12, vcc_lo
	s_delay_alu instid0(VALU_DEP_2) | instskip(NEXT) | instid1(VALU_DEP_2)
	v_add_co_u32 v9, vcc_lo, v10, v9
	v_add_co_ci_u32_e32 v9, vcc_lo, v11, v13, vcc_lo
	v_add_co_ci_u32_e32 v10, vcc_lo, 0, v14, vcc_lo
	s_delay_alu instid0(VALU_DEP_2) | instskip(NEXT) | instid1(VALU_DEP_2)
	v_add_co_u32 v8, vcc_lo, v9, v8
	v_add_co_ci_u32_e32 v9, vcc_lo, 0, v10, vcc_lo
	s_delay_alu instid0(VALU_DEP_2) | instskip(NEXT) | instid1(VALU_DEP_2)
	v_add_co_u32 v4, vcc_lo, v4, v8
	v_add_co_ci_u32_e32 v13, vcc_lo, v7, v9, vcc_lo
	s_delay_alu instid0(VALU_DEP_2) | instskip(SKIP_1) | instid1(VALU_DEP_3)
	v_mul_hi_u32 v14, v5, v4
	v_mad_u64_u32 v[9:10], null, v6, v4, 0
	v_mad_u64_u32 v[7:8], null, v5, v13, 0
	;; [unrolled: 1-line block ×3, first 2 shown]
	s_delay_alu instid0(VALU_DEP_2) | instskip(NEXT) | instid1(VALU_DEP_3)
	v_add_co_u32 v4, vcc_lo, v14, v7
	v_add_co_ci_u32_e32 v7, vcc_lo, 0, v8, vcc_lo
	s_delay_alu instid0(VALU_DEP_2) | instskip(NEXT) | instid1(VALU_DEP_2)
	v_add_co_u32 v4, vcc_lo, v4, v9
	v_add_co_ci_u32_e32 v4, vcc_lo, v7, v10, vcc_lo
	v_add_co_ci_u32_e32 v7, vcc_lo, 0, v12, vcc_lo
	s_delay_alu instid0(VALU_DEP_2) | instskip(NEXT) | instid1(VALU_DEP_2)
	v_add_co_u32 v4, vcc_lo, v4, v11
	v_add_co_ci_u32_e32 v9, vcc_lo, 0, v7, vcc_lo
	s_delay_alu instid0(VALU_DEP_2) | instskip(SKIP_1) | instid1(VALU_DEP_3)
	v_mul_lo_u32 v10, s25, v4
	v_mad_u64_u32 v[7:8], null, s24, v4, 0
	v_mul_lo_u32 v11, s24, v9
	s_delay_alu instid0(VALU_DEP_2) | instskip(NEXT) | instid1(VALU_DEP_2)
	v_sub_co_u32 v7, vcc_lo, v5, v7
	v_add3_u32 v8, v8, v11, v10
	s_delay_alu instid0(VALU_DEP_1) | instskip(NEXT) | instid1(VALU_DEP_1)
	v_sub_nc_u32_e32 v10, v6, v8
	v_subrev_co_ci_u32_e64 v10, s2, s25, v10, vcc_lo
	v_add_co_u32 v11, s2, v4, 2
	s_delay_alu instid0(VALU_DEP_1) | instskip(SKIP_3) | instid1(VALU_DEP_3)
	v_add_co_ci_u32_e64 v12, s2, 0, v9, s2
	v_sub_co_u32 v13, s2, v7, s24
	v_sub_co_ci_u32_e32 v8, vcc_lo, v6, v8, vcc_lo
	v_subrev_co_ci_u32_e64 v10, s2, 0, v10, s2
	v_cmp_le_u32_e32 vcc_lo, s24, v13
	s_delay_alu instid0(VALU_DEP_3) | instskip(SKIP_1) | instid1(VALU_DEP_4)
	v_cmp_eq_u32_e64 s2, s25, v8
	v_cndmask_b32_e64 v13, 0, -1, vcc_lo
	v_cmp_le_u32_e32 vcc_lo, s25, v10
	v_cndmask_b32_e64 v14, 0, -1, vcc_lo
	v_cmp_le_u32_e32 vcc_lo, s24, v7
	;; [unrolled: 2-line block ×3, first 2 shown]
	v_cndmask_b32_e64 v15, 0, -1, vcc_lo
	v_cmp_eq_u32_e32 vcc_lo, s25, v10
	s_delay_alu instid0(VALU_DEP_2) | instskip(SKIP_3) | instid1(VALU_DEP_3)
	v_cndmask_b32_e64 v7, v15, v7, s2
	v_cndmask_b32_e32 v10, v14, v13, vcc_lo
	v_add_co_u32 v13, vcc_lo, v4, 1
	v_add_co_ci_u32_e32 v14, vcc_lo, 0, v9, vcc_lo
	v_cmp_ne_u32_e32 vcc_lo, 0, v10
	s_delay_alu instid0(VALU_DEP_2) | instskip(NEXT) | instid1(VALU_DEP_4)
	v_cndmask_b32_e32 v8, v14, v12, vcc_lo
	v_cndmask_b32_e32 v10, v13, v11, vcc_lo
	v_cmp_ne_u32_e32 vcc_lo, 0, v7
	s_delay_alu instid0(VALU_DEP_2)
	v_dual_cndmask_b32 v19, v9, v8 :: v_dual_cndmask_b32 v18, v4, v10
.LBB0_4:                                ;   in Loop: Header=BB0_2 Depth=1
	s_and_not1_saveexec_b32 s2, s3
	s_cbranch_execz .LBB0_6
; %bb.5:                                ;   in Loop: Header=BB0_2 Depth=1
	v_cvt_f32_u32_e32 v4, s24
	s_sub_i32 s3, 0, s24
	v_mov_b32_e32 v19, v3
	s_delay_alu instid0(VALU_DEP_2) | instskip(SKIP_2) | instid1(VALU_DEP_1)
	v_rcp_iflag_f32_e32 v4, v4
	s_waitcnt_depctr 0xfff
	v_mul_f32_e32 v4, 0x4f7ffffe, v4
	v_cvt_u32_f32_e32 v4, v4
	s_delay_alu instid0(VALU_DEP_1) | instskip(NEXT) | instid1(VALU_DEP_1)
	v_mul_lo_u32 v7, s3, v4
	v_mul_hi_u32 v7, v4, v7
	s_delay_alu instid0(VALU_DEP_1) | instskip(NEXT) | instid1(VALU_DEP_1)
	v_add_nc_u32_e32 v4, v4, v7
	v_mul_hi_u32 v4, v5, v4
	s_delay_alu instid0(VALU_DEP_1) | instskip(SKIP_1) | instid1(VALU_DEP_2)
	v_mul_lo_u32 v7, v4, s24
	v_add_nc_u32_e32 v8, 1, v4
	v_sub_nc_u32_e32 v7, v5, v7
	s_delay_alu instid0(VALU_DEP_1) | instskip(SKIP_1) | instid1(VALU_DEP_2)
	v_subrev_nc_u32_e32 v9, s24, v7
	v_cmp_le_u32_e32 vcc_lo, s24, v7
	v_dual_cndmask_b32 v7, v7, v9 :: v_dual_cndmask_b32 v4, v4, v8
	s_delay_alu instid0(VALU_DEP_1) | instskip(NEXT) | instid1(VALU_DEP_2)
	v_cmp_le_u32_e32 vcc_lo, s24, v7
	v_add_nc_u32_e32 v8, 1, v4
	s_delay_alu instid0(VALU_DEP_1)
	v_cndmask_b32_e32 v18, v4, v8, vcc_lo
.LBB0_6:                                ;   in Loop: Header=BB0_2 Depth=1
	s_or_b32 exec_lo, exec_lo, s2
	s_delay_alu instid0(VALU_DEP_1) | instskip(NEXT) | instid1(VALU_DEP_2)
	v_mul_lo_u32 v4, v19, s24
	v_mul_lo_u32 v9, v18, s25
	s_load_b64 s[2:3], s[14:15], 0x0
	v_mad_u64_u32 v[7:8], null, v18, s24, 0
	s_load_b64 s[24:25], s[12:13], 0x0
	s_add_u32 s22, s22, 1
	s_addc_u32 s23, s23, 0
	s_add_u32 s12, s12, 8
	s_addc_u32 s13, s13, 0
	s_add_u32 s14, s14, 8
	s_delay_alu instid0(VALU_DEP_1) | instskip(SKIP_3) | instid1(VALU_DEP_2)
	v_add3_u32 v4, v8, v9, v4
	v_sub_co_u32 v8, vcc_lo, v5, v7
	s_addc_u32 s15, s15, 0
	s_add_u32 s20, s20, 8
	v_sub_co_ci_u32_e32 v6, vcc_lo, v6, v4, vcc_lo
	s_addc_u32 s21, s21, 0
	s_waitcnt lgkmcnt(0)
	s_delay_alu instid0(VALU_DEP_1)
	v_mul_lo_u32 v9, s2, v6
	v_mul_lo_u32 v10, s3, v8
	v_mad_u64_u32 v[4:5], null, s2, v8, v[1:2]
	v_mul_lo_u32 v11, s24, v6
	v_mul_lo_u32 v12, s25, v8
	v_mad_u64_u32 v[6:7], null, s24, v8, v[16:17]
	v_cmp_ge_u64_e64 s2, s[22:23], s[10:11]
	v_add3_u32 v2, v10, v5, v9
	s_delay_alu instid0(VALU_DEP_3) | instskip(NEXT) | instid1(VALU_DEP_4)
	v_dual_mov_b32 v1, v4 :: v_dual_mov_b32 v16, v6
	v_add3_u32 v17, v12, v7, v11
	s_delay_alu instid0(VALU_DEP_4)
	s_and_b32 vcc_lo, exec_lo, s2
	s_cbranch_vccnz .LBB0_9
; %bb.7:                                ;   in Loop: Header=BB0_2 Depth=1
	v_dual_mov_b32 v5, v18 :: v_dual_mov_b32 v6, v19
	s_branch .LBB0_2
.LBB0_8:
	v_dual_mov_b32 v17, v2 :: v_dual_mov_b32 v16, v1
	v_dual_mov_b32 v19, v6 :: v_dual_mov_b32 v18, v5
.LBB0_9:
	s_load_b64 s[0:1], s[0:1], 0x28
	v_mul_hi_u32 v3, 0x3291620, v0
	s_lshl_b64 s[10:11], s[10:11], 3
                                        ; implicit-def: $vgpr20
	s_delay_alu instid0(SALU_CYCLE_1) | instskip(SKIP_4) | instid1(VALU_DEP_1)
	s_add_u32 s2, s18, s10
	s_addc_u32 s3, s19, s11
	s_waitcnt lgkmcnt(0)
	v_cmp_gt_u64_e32 vcc_lo, s[0:1], v[18:19]
	v_cmp_le_u64_e64 s0, s[0:1], v[18:19]
	s_and_saveexec_b32 s1, s0
	s_delay_alu instid0(SALU_CYCLE_1)
	s_xor_b32 s0, exec_lo, s1
; %bb.10:
	v_mul_u32_u24_e32 v1, 0x51, v3
                                        ; implicit-def: $vgpr3
	s_delay_alu instid0(VALU_DEP_1)
	v_sub_nc_u32_e32 v20, v0, v1
                                        ; implicit-def: $vgpr0
                                        ; implicit-def: $vgpr1_vgpr2
; %bb.11:
	s_or_saveexec_b32 s1, s0
	s_load_b64 s[2:3], s[2:3], 0x0
	s_xor_b32 exec_lo, exec_lo, s1
	s_cbranch_execz .LBB0_15
; %bb.12:
	s_add_u32 s10, s16, s10
	s_addc_u32 s11, s17, s11
	v_lshlrev_b64 v[1:2], 3, v[1:2]
	s_load_b64 s[10:11], s[10:11], 0x0
	s_waitcnt lgkmcnt(0)
	v_mul_lo_u32 v6, s11, v18
	v_mul_lo_u32 v7, s10, v19
	v_mad_u64_u32 v[4:5], null, s10, v18, 0
	s_delay_alu instid0(VALU_DEP_1) | instskip(SKIP_1) | instid1(VALU_DEP_2)
	v_add3_u32 v5, v5, v7, v6
	v_mul_u32_u24_e32 v6, 0x51, v3
	v_lshlrev_b64 v[3:4], 3, v[4:5]
	s_delay_alu instid0(VALU_DEP_2) | instskip(NEXT) | instid1(VALU_DEP_1)
	v_sub_nc_u32_e32 v20, v0, v6
	v_lshlrev_b32_e32 v27, 3, v20
	s_delay_alu instid0(VALU_DEP_3) | instskip(NEXT) | instid1(VALU_DEP_1)
	v_add_co_u32 v0, s0, s4, v3
	v_add_co_ci_u32_e64 v3, s0, s5, v4, s0
	s_mov_b32 s4, exec_lo
	s_delay_alu instid0(VALU_DEP_2) | instskip(NEXT) | instid1(VALU_DEP_1)
	v_add_co_u32 v0, s0, v0, v1
	v_add_co_ci_u32_e64 v1, s0, v3, v2, s0
	s_delay_alu instid0(VALU_DEP_2) | instskip(NEXT) | instid1(VALU_DEP_1)
	v_add_co_u32 v2, s0, v0, v27
	v_add_co_ci_u32_e64 v3, s0, 0, v1, s0
	v_add_nc_u32_e32 v27, 0, v27
	s_delay_alu instid0(VALU_DEP_3) | instskip(NEXT) | instid1(VALU_DEP_1)
	v_add_co_u32 v4, s0, 0x1000, v2
	v_add_co_ci_u32_e64 v5, s0, 0, v3, s0
	s_clause 0x9
	global_load_b64 v[6:7], v[2:3], off
	global_load_b64 v[8:9], v[2:3], off offset:648
	global_load_b64 v[10:11], v[2:3], off offset:1296
	;; [unrolled: 1-line block ×9, first 2 shown]
	v_add_nc_u32_e32 v28, 0x800, v27
	v_add_nc_u32_e32 v29, 0xc00, v27
	;; [unrolled: 1-line block ×3, first 2 shown]
	s_waitcnt vmcnt(8)
	ds_store_2addr_b64 v27, v[6:7], v[8:9] offset1:81
	s_waitcnt vmcnt(6)
	ds_store_2addr_b64 v27, v[10:11], v[12:13] offset0:162 offset1:243
	s_waitcnt vmcnt(4)
	ds_store_2addr_b64 v28, v[14:15], v[21:22] offset0:68 offset1:149
	;; [unrolled: 2-line block ×4, first 2 shown]
	v_cmpx_eq_u32_e32 0x50, v20
	s_cbranch_execz .LBB0_14
; %bb.13:
	v_add_co_u32 v0, s0, 0x1000, v0
	s_delay_alu instid0(VALU_DEP_1)
	v_add_co_ci_u32_e64 v1, s0, 0, v1, s0
	v_mov_b32_e32 v2, 0
	v_mov_b32_e32 v20, 0x50
	global_load_b64 v[0:1], v[0:1], off offset:2384
	s_waitcnt vmcnt(0)
	ds_store_b64 v2, v[0:1] offset:6480
.LBB0_14:
	s_or_b32 exec_lo, exec_lo, s4
.LBB0_15:
	s_delay_alu instid0(SALU_CYCLE_1)
	s_or_b32 exec_lo, exec_lo, s1
	v_lshlrev_b32_e32 v0, 3, v20
	s_waitcnt lgkmcnt(0)
	s_barrier
	buffer_gl0_inv
	s_add_u32 s1, s8, 0x1938
	v_add_nc_u32_e32 v31, 0, v0
	v_sub_nc_u32_e32 v4, 0, v0
	s_addc_u32 s4, s9, 0
	s_mov_b32 s5, exec_lo
                                        ; implicit-def: $vgpr2_vgpr3
	ds_load_b32 v5, v31
	ds_load_b32 v6, v4 offset:6480
	s_waitcnt lgkmcnt(0)
	v_dual_add_f32 v0, v6, v5 :: v_dual_sub_f32 v1, v5, v6
	v_cmpx_ne_u32_e32 0, v20
	s_xor_b32 s5, exec_lo, s5
	s_cbranch_execz .LBB0_17
; %bb.16:
	v_dual_mov_b32 v21, 0 :: v_dual_sub_f32 v8, v5, v6
	s_delay_alu instid0(VALU_DEP_1) | instskip(NEXT) | instid1(VALU_DEP_1)
	v_lshlrev_b64 v[0:1], 3, v[20:21]
	v_add_co_u32 v0, s0, s1, v0
	s_delay_alu instid0(VALU_DEP_1)
	v_add_co_ci_u32_e64 v1, s0, s4, v1, s0
	global_load_b64 v[2:3], v[0:1], off
	ds_load_b32 v0, v4 offset:6484
	ds_load_b32 v1, v31 offset:4
	v_add_f32_e32 v7, v6, v5
	s_waitcnt lgkmcnt(0)
	v_dual_add_f32 v9, v0, v1 :: v_dual_sub_f32 v0, v1, v0
	s_waitcnt vmcnt(0)
	s_delay_alu instid0(VALU_DEP_2) | instskip(NEXT) | instid1(VALU_DEP_2)
	v_fma_f32 v5, -v8, v3, v7
	v_fma_f32 v6, v9, v3, -v0
	v_fma_f32 v10, v8, v3, v7
	v_fma_f32 v1, v9, v3, v0
	s_delay_alu instid0(VALU_DEP_3) | instskip(NEXT) | instid1(VALU_DEP_3)
	v_dual_fmac_f32 v5, v2, v9 :: v_dual_fmac_f32 v6, v8, v2
	v_fma_f32 v0, -v2, v9, v10
	s_delay_alu instid0(VALU_DEP_3)
	v_fmac_f32_e32 v1, v8, v2
	v_dual_mov_b32 v2, v20 :: v_dual_mov_b32 v3, v21
	ds_store_b64 v4, v[5:6] offset:6480
.LBB0_17:
	s_and_not1_saveexec_b32 s0, s5
	s_cbranch_execz .LBB0_19
; %bb.18:
	v_mov_b32_e32 v7, 0
	ds_load_b64 v[2:3], v7 offset:3240
	s_waitcnt lgkmcnt(0)
	v_dual_mul_f32 v6, -2.0, v3 :: v_dual_add_f32 v5, v2, v2
	v_mov_b32_e32 v2, 0
	v_mov_b32_e32 v3, 0
	ds_store_b64 v7, v[5:6] offset:3240
.LBB0_19:
	s_or_b32 exec_lo, exec_lo, s0
	v_lshlrev_b64 v[2:3], 3, v[2:3]
	s_delay_alu instid0(VALU_DEP_1) | instskip(NEXT) | instid1(VALU_DEP_1)
	v_add_co_u32 v2, s0, s1, v2
	v_add_co_ci_u32_e64 v3, s0, s4, v3, s0
	v_cmp_gt_u32_e64 s0, 27, v20
	s_clause 0x3
	global_load_b64 v[5:6], v[2:3], off offset:648
	global_load_b64 v[7:8], v[2:3], off offset:1296
	;; [unrolled: 1-line block ×4, first 2 shown]
	ds_store_b64 v31, v[0:1]
	ds_load_b64 v[0:1], v31 offset:648
	ds_load_b64 v[11:12], v4 offset:5832
	s_waitcnt lgkmcnt(0)
	v_add_f32_e32 v13, v0, v11
	v_add_f32_e32 v14, v12, v1
	v_dual_sub_f32 v15, v0, v11 :: v_dual_sub_f32 v0, v1, v12
	s_waitcnt vmcnt(3)
	s_delay_alu instid0(VALU_DEP_1) | instskip(NEXT) | instid1(VALU_DEP_2)
	v_fma_f32 v21, v15, v6, v13
	v_fma_f32 v1, v14, v6, v0
	v_fma_f32 v11, -v15, v6, v13
	v_fma_f32 v12, v14, v6, -v0
	s_delay_alu instid0(VALU_DEP_4) | instskip(NEXT) | instid1(VALU_DEP_4)
	v_fma_f32 v0, -v5, v14, v21
	v_fmac_f32_e32 v1, v15, v5
	s_delay_alu instid0(VALU_DEP_3)
	v_dual_fmac_f32 v11, v5, v14 :: v_dual_fmac_f32 v12, v15, v5
	ds_store_b64 v31, v[0:1] offset:648
	ds_store_b64 v4, v[11:12] offset:5832
	ds_load_b64 v[0:1], v31 offset:1296
	ds_load_b64 v[5:6], v4 offset:5184
	s_waitcnt lgkmcnt(0)
	v_add_f32_e32 v11, v0, v5
	v_add_f32_e32 v12, v6, v1
	v_dual_sub_f32 v13, v0, v5 :: v_dual_sub_f32 v0, v1, v6
	s_waitcnt vmcnt(2)
	s_delay_alu instid0(VALU_DEP_1) | instskip(NEXT) | instid1(VALU_DEP_2)
	v_fma_f32 v14, v13, v8, v11
	v_fma_f32 v1, v12, v8, v0
	v_fma_f32 v5, -v13, v8, v11
	v_fma_f32 v6, v12, v8, -v0
	s_delay_alu instid0(VALU_DEP_4) | instskip(NEXT) | instid1(VALU_DEP_4)
	v_fma_f32 v0, -v7, v12, v14
	v_fmac_f32_e32 v1, v13, v7
	s_delay_alu instid0(VALU_DEP_3)
	v_dual_fmac_f32 v5, v7, v12 :: v_dual_fmac_f32 v6, v13, v7
	ds_store_b64 v31, v[0:1] offset:1296
	ds_store_b64 v4, v[5:6] offset:5184
	ds_load_b64 v[0:1], v31 offset:1944
	ds_load_b64 v[5:6], v4 offset:4536
	v_add_nc_u32_e32 v13, 0x1000, v31
	s_waitcnt lgkmcnt(0)
	v_dual_add_f32 v7, v0, v5 :: v_dual_add_nc_u32 v14, 0xc00, v31
	v_add_f32_e32 v8, v6, v1
	v_dual_sub_f32 v11, v0, v5 :: v_dual_sub_f32 v0, v1, v6
	s_waitcnt vmcnt(1)
	s_delay_alu instid0(VALU_DEP_1) | instskip(NEXT) | instid1(VALU_DEP_2)
	v_fma_f32 v12, v11, v10, v7
	v_fma_f32 v1, v8, v10, v0
	v_fma_f32 v5, -v11, v10, v7
	v_fma_f32 v6, v8, v10, -v0
	s_delay_alu instid0(VALU_DEP_4) | instskip(NEXT) | instid1(VALU_DEP_4)
	v_fma_f32 v0, -v9, v8, v12
	v_dual_fmac_f32 v1, v11, v9 :: v_dual_add_nc_u32 v12, 0x800, v31
	s_delay_alu instid0(VALU_DEP_3)
	v_dual_fmac_f32 v5, v9, v8 :: v_dual_fmac_f32 v6, v11, v9
	ds_store_b64 v31, v[0:1] offset:1944
	ds_store_b64 v4, v[5:6] offset:4536
	ds_load_b64 v[0:1], v31 offset:2592
	ds_load_b64 v[5:6], v4 offset:3888
	s_waitcnt lgkmcnt(0)
	v_add_f32_e32 v7, v0, v5
	v_sub_f32_e32 v9, v0, v5
	v_add_f32_e32 v8, v6, v1
	v_sub_f32_e32 v0, v1, v6
	s_waitcnt vmcnt(0)
	s_delay_alu instid0(VALU_DEP_3) | instskip(SKIP_1) | instid1(VALU_DEP_3)
	v_fma_f32 v10, v9, v3, v7
	v_fma_f32 v5, -v9, v3, v7
	v_fma_f32 v1, v8, v3, v0
	s_delay_alu instid0(VALU_DEP_1) | instskip(SKIP_2) | instid1(VALU_DEP_2)
	v_fmac_f32_e32 v1, v9, v2
	v_fma_f32 v6, v8, v3, -v0
	v_fma_f32 v0, -v2, v8, v10
	v_dual_fmac_f32 v5, v2, v8 :: v_dual_fmac_f32 v6, v9, v2
	ds_store_b64 v31, v[0:1] offset:2592
	ds_store_b64 v4, v[5:6] offset:3888
	s_waitcnt lgkmcnt(0)
	s_barrier
	buffer_gl0_inv
	s_barrier
	buffer_gl0_inv
	ds_load_2addr_b64 v[23:26], v31 offset1:81
	ds_load_2addr_b64 v[27:30], v12 offset0:14 offset1:95
	ds_load_2addr_b64 v[32:35], v13 offset0:28 offset1:109
	v_lshlrev_b32_e32 v0, 4, v20
	v_add_nc_u32_e32 v1, 0x1400, v31
	s_delay_alu instid0(VALU_DEP_2)
	v_add_nc_u32_e32 v15, v31, v0
	s_waitcnt lgkmcnt(1)
	v_dual_add_f32 v21, v23, v27 :: v_dual_add_f32 v40, v25, v29
	s_waitcnt lgkmcnt(0)
	v_sub_f32_e32 v36, v28, v33
	ds_load_2addr_b64 v[4:7], v31 offset0:162 offset1:243
	ds_load_2addr_b64 v[8:11], v14 offset0:48 offset1:129
	;; [unrolled: 1-line block ×3, first 2 shown]
	v_add_f32_e32 v22, v27, v32
	v_dual_add_f32 v37, v24, v28 :: v_dual_sub_f32 v42, v30, v35
	v_dual_add_f32 v28, v28, v33 :: v_dual_sub_f32 v45, v29, v34
	v_dual_sub_f32 v39, v27, v32 :: v_dual_add_f32 v44, v30, v35
	v_add_f32_e32 v41, v29, v34
	v_add_f32_e32 v43, v26, v30
	v_fma_f32 v27, -0.5, v22, v23
	v_fma_f32 v28, -0.5, v28, v24
	v_dual_fmac_f32 v26, -0.5, v44 :: v_dual_add_f32 v29, v40, v34
	v_add_nc_u32_e32 v38, 0xf30, v15
	s_waitcnt lgkmcnt(0)
	s_barrier
	buffer_gl0_inv
	v_dual_add_f32 v49, v5, v9 :: v_dual_add_f32 v52, v10, v2
	v_dual_add_f32 v47, v8, v0 :: v_dual_add_f32 v50, v9, v1
	v_add_f32_e32 v54, v11, v3
	v_add_f32_e32 v46, v4, v8
	v_dual_sub_f32 v48, v9, v1 :: v_dual_sub_f32 v51, v8, v0
	v_add_f32_e32 v30, v43, v35
	v_dual_sub_f32 v53, v11, v3 :: v_dual_add_f32 v8, v21, v32
	v_sub_f32_e32 v55, v10, v2
	v_fma_f32 v4, -0.5, v47, v4
	v_fma_f32 v21, -0.5, v52, v6
	;; [unrolled: 1-line block ×5, first 2 shown]
	v_dual_add_f32 v9, v37, v33 :: v_dual_add_f32 v0, v46, v0
	v_dual_add_f32 v1, v49, v1 :: v_dual_fmamk_f32 v32, v36, 0x3f5db3d7, v27
	v_dual_fmac_f32 v27, 0xbf5db3d7, v36 :: v_dual_fmamk_f32 v24, v55, 0xbf5db3d7, v22
	v_fmamk_f32 v33, v39, 0xbf5db3d7, v28
	v_dual_fmamk_f32 v36, v48, 0x3f5db3d7, v4 :: v_dual_fmamk_f32 v23, v53, 0x3f5db3d7, v21
	v_fmac_f32_e32 v21, 0xbf5db3d7, v53
	v_fmac_f32_e32 v22, 0x3f5db3d7, v55
	v_fmamk_f32 v34, v42, 0x3f5db3d7, v25
	v_fmamk_f32 v35, v45, 0xbf5db3d7, v26
	v_fmac_f32_e32 v28, 0x3f5db3d7, v39
	v_dual_fmac_f32 v25, 0xbf5db3d7, v42 :: v_dual_fmac_f32 v4, 0xbf5db3d7, v48
	v_fmac_f32_e32 v26, 0x3f5db3d7, v45
	v_fmamk_f32 v37, v51, 0xbf5db3d7, v5
	v_fmac_f32_e32 v5, 0x3f5db3d7, v51
	ds_store_2addr_b64 v15, v[8:9], v[32:33] offset1:1
	ds_store_2addr_b64 v15, v[29:30], v[34:35] offset0:243 offset1:244
	ds_store_2addr_b64 v15, v[27:28], v[25:26] offset0:2 offset1:245
	ds_store_2addr_b64 v38, v[0:1], v[36:37] offset1:1
	ds_store_b64 v15, v[4:5] offset:3904
	s_and_saveexec_b32 s1, s0
	s_cbranch_execz .LBB0_21
; %bb.20:
	v_add_f32_e32 v0, v7, v11
	v_dual_add_f32 v4, v6, v10 :: v_dual_add_nc_u32 v5, 0x16c8, v15
	s_delay_alu instid0(VALU_DEP_2) | instskip(NEXT) | instid1(VALU_DEP_2)
	v_add_f32_e32 v1, v0, v3
	v_add_f32_e32 v0, v4, v2
	ds_store_2addr_b64 v5, v[0:1], v[23:24] offset1:1
	ds_store_b64 v15, v[21:22] offset:5848
.LBB0_21:
	s_or_b32 exec_lo, exec_lo, s1
	v_and_b32_e32 v29, 0xff, v20
	s_waitcnt lgkmcnt(0)
	s_barrier
	buffer_gl0_inv
	v_mul_lo_u16 v0, 0xab, v29
	s_delay_alu instid0(VALU_DEP_1) | instskip(NEXT) | instid1(VALU_DEP_1)
	v_lshrrev_b16 v15, 9, v0
	v_mul_lo_u16 v0, v15, 3
	s_delay_alu instid0(VALU_DEP_1) | instskip(NEXT) | instid1(VALU_DEP_1)
	v_sub_nc_u16 v0, v20, v0
	v_and_b32_e32 v30, 0xff, v0
	s_delay_alu instid0(VALU_DEP_1) | instskip(NEXT) | instid1(VALU_DEP_1)
	v_mul_u32_u24_e32 v0, 9, v30
	v_lshlrev_b32_e32 v32, 3, v0
	s_clause 0x4
	global_load_b128 v[0:3], v32, s[8:9]
	global_load_b128 v[4:7], v32, s[8:9] offset:16
	global_load_b128 v[8:11], v32, s[8:9] offset:32
	;; [unrolled: 1-line block ×3, first 2 shown]
	global_load_b64 v[52:53], v32, s[8:9] offset:64
	ds_load_2addr_b64 v[32:35], v31 offset1:81
	ds_load_2addr_b64 v[36:39], v31 offset0:162 offset1:243
	ds_load_2addr_b64 v[40:43], v12 offset0:68 offset1:149
	ds_load_2addr_b64 v[44:47], v14 offset0:102 offset1:183
	ds_load_2addr_b64 v[48:51], v13 offset0:136 offset1:217
	v_and_b32_e32 v15, 0xffff, v15
	s_waitcnt vmcnt(0) lgkmcnt(0)
	s_barrier
	buffer_gl0_inv
	v_mul_f32_e32 v56, v7, v41
	v_mul_u32_u24_e32 v14, 0xf0, v15
	v_dual_mul_f32 v58, v45, v11 :: v_dual_lshlrev_b32 v15, 3, v30
	v_add_nc_u32_e32 v30, 0x400, v31
	v_mul_f32_e32 v55, v5, v39
	v_mul_f32_e32 v5, v5, v38
	s_delay_alu instid0(VALU_DEP_4)
	v_add3_u32 v54, 0, v14, v15
	v_mul_f32_e32 v14, v1, v35
	v_mul_f32_e32 v15, v1, v34
	;; [unrolled: 1-line block ×4, first 2 shown]
	v_dual_mul_f32 v11, v44, v11 :: v_dual_mul_f32 v60, v49, v28
	v_mul_f32_e32 v28, v48, v28
	v_mul_f32_e32 v7, v7, v40
	v_fma_f32 v14, v0, v34, -v14
	v_fmac_f32_e32 v15, v0, v35
	v_fma_f32 v0, v2, v36, -v1
	v_fmac_f32_e32 v3, v2, v37
	v_fma_f32 v2, v6, v40, -v56
	v_mul_f32_e32 v59, v47, v26
	v_dual_mul_f32 v26, v46, v26 :: v_dual_mul_f32 v57, v9, v43
	v_fmac_f32_e32 v11, v45, v10
	v_dual_fmac_f32 v28, v49, v27 :: v_dual_fmac_f32 v7, v6, v41
	v_mul_f32_e32 v9, v9, v42
	v_fma_f32 v6, v44, v10, -v58
	v_mul_f32_e32 v61, v51, v53
	v_fma_f32 v10, v48, v27, -v60
	v_fma_f32 v1, v4, v38, -v55
	s_delay_alu instid0(VALU_DEP_4)
	v_dual_fmac_f32 v5, v4, v39 :: v_dual_sub_f32 v44, v2, v6
	v_fmac_f32_e32 v26, v47, v25
	v_fma_f32 v4, v8, v42, -v57
	v_add_f32_e32 v34, v2, v6
	v_sub_f32_e32 v36, v7, v11
	v_dual_fmac_f32 v9, v8, v43 :: v_dual_sub_f32 v38, v10, v6
	v_dual_add_f32 v27, v32, v0 :: v_dual_add_f32 v60, v15, v5
	v_dual_add_f32 v39, v0, v10 :: v_dual_sub_f32 v40, v2, v0
	v_fma_f32 v8, v46, v25, -v59
	v_fma_f32 v25, v50, v52, -v61
	v_sub_f32_e32 v37, v0, v2
	v_dual_sub_f32 v0, v0, v10 :: v_dual_mul_f32 v53, v50, v53
	v_dual_add_f32 v42, v33, v3 :: v_dual_sub_f32 v35, v3, v28
	v_sub_f32_e32 v58, v4, v1
	v_dual_add_f32 v49, v14, v1 :: v_dual_add_f32 v2, v27, v2
	v_add_f32_e32 v50, v4, v8
	v_sub_f32_e32 v46, v28, v11
	v_sub_f32_e32 v45, v3, v7
	;; [unrolled: 1-line block ×3, first 2 shown]
	v_dual_fmac_f32 v53, v51, v52 :: v_dual_sub_f32 v52, v9, v26
	v_fma_f32 v34, -0.5, v34, v32
	v_dual_sub_f32 v41, v6, v10 :: v_dual_sub_f32 v62, v4, v8
	s_delay_alu instid0(VALU_DEP_3)
	v_dual_add_f32 v43, v7, v11 :: v_dual_sub_f32 v64, v53, v26
	v_sub_f32_e32 v55, v1, v4
	v_add_f32_e32 v57, v1, v25
	v_sub_f32_e32 v66, v26, v53
	v_fma_f32 v32, -0.5, v39, v32
	v_add_f32_e32 v4, v49, v4
	v_dual_add_f32 v39, v45, v46 :: v_dual_fmamk_f32 v46, v35, 0x3f737871, v34
	v_dual_fmac_f32 v34, 0xbf737871, v35 :: v_dual_add_f32 v47, v3, v28
	v_dual_sub_f32 v3, v7, v3 :: v_dual_add_f32 v2, v2, v6
	v_sub_f32_e32 v56, v25, v8
	v_dual_add_f32 v65, v5, v53 :: v_dual_add_f32 v4, v4, v8
	v_add_f32_e32 v27, v37, v38
	v_add_f32_e32 v37, v40, v41
	v_fma_f32 v38, -0.5, v43, v33
	v_sub_f32_e32 v63, v5, v9
	v_fma_f32 v40, -0.5, v50, v14
	v_fmac_f32_e32 v14, -0.5, v57
	v_fma_f32 v33, -0.5, v47, v33
	v_sub_f32_e32 v59, v8, v25
	v_sub_f32_e32 v1, v1, v25
	v_dual_add_f32 v7, v42, v7 :: v_dual_fmac_f32 v46, 0x3f167918, v36
	v_add_f32_e32 v61, v9, v26
	v_dual_add_f32 v3, v3, v48 :: v_dual_add_f32 v2, v2, v10
	v_fmamk_f32 v48, v0, 0xbf737871, v38
	v_fmac_f32_e32 v38, 0x3f737871, v0
	v_dual_add_f32 v45, v63, v64 :: v_dual_add_f32 v4, v4, v25
	v_fmamk_f32 v47, v36, 0xbf737871, v32
	v_dual_fmac_f32 v32, 0x3f737871, v36 :: v_dual_fmamk_f32 v49, v44, 0x3f737871, v33
	v_dual_sub_f32 v51, v5, v53 :: v_dual_add_f32 v42, v58, v59
	v_sub_f32_e32 v5, v9, v5
	s_delay_alu instid0(VALU_DEP_3)
	v_dual_add_f32 v41, v55, v56 :: v_dual_fmac_f32 v32, 0xbf167918, v35
	v_dual_add_f32 v9, v60, v9 :: v_dual_fmac_f32 v34, 0xbf167918, v36
	v_add_f32_e32 v6, v7, v11
	v_fma_f32 v43, -0.5, v61, v15
	v_dual_fmac_f32 v15, -0.5, v65 :: v_dual_fmamk_f32 v8, v52, 0xbf737871, v14
	v_fmac_f32_e32 v14, 0x3f737871, v52
	s_delay_alu instid0(VALU_DEP_4)
	v_add_f32_e32 v6, v6, v28
	v_fmac_f32_e32 v49, 0xbf167918, v0
	v_dual_add_f32 v9, v9, v26 :: v_dual_fmac_f32 v38, 0x3f167918, v44
	v_fmamk_f32 v26, v62, 0x3f737871, v15
	v_fmac_f32_e32 v48, 0xbf167918, v44
	v_fmac_f32_e32 v14, 0xbf167918, v51
	v_dual_fmac_f32 v32, 0x3e9e377a, v37 :: v_dual_fmac_f32 v49, 0x3e9e377a, v3
	v_fmamk_f32 v7, v51, 0x3f737871, v40
	v_dual_fmac_f32 v40, 0xbf737871, v51 :: v_dual_add_f32 v5, v5, v66
	v_fmac_f32_e32 v8, 0x3f167918, v51
	v_fmac_f32_e32 v48, 0x3e9e377a, v39
	s_delay_alu instid0(VALU_DEP_4) | instskip(SKIP_3) | instid1(VALU_DEP_4)
	v_fmac_f32_e32 v7, 0x3f167918, v52
	v_fmac_f32_e32 v26, 0xbf167918, v1
	;; [unrolled: 1-line block ×4, first 2 shown]
	v_dual_fmac_f32 v34, 0x3e9e377a, v27 :: v_dual_fmac_f32 v7, 0x3e9e377a, v41
	s_delay_alu instid0(VALU_DEP_4) | instskip(SKIP_2) | instid1(VALU_DEP_4)
	v_fmac_f32_e32 v26, 0x3e9e377a, v5
	v_fmac_f32_e32 v38, 0x3e9e377a, v39
	v_dual_fmac_f32 v40, 0xbf167918, v52 :: v_dual_add_f32 v9, v9, v53
	v_mul_f32_e32 v28, 0xbf167918, v7
	s_delay_alu instid0(VALU_DEP_4) | instskip(SKIP_1) | instid1(VALU_DEP_2)
	v_mul_f32_e32 v27, 0x3f737871, v26
	v_fmac_f32_e32 v14, 0x3e9e377a, v42
	v_dual_fmac_f32 v40, 0x3e9e377a, v41 :: v_dual_fmac_f32 v27, 0x3e9e377a, v8
	v_fmamk_f32 v11, v1, 0xbf737871, v43
	v_fmac_f32_e32 v43, 0x3f737871, v1
	s_delay_alu instid0(VALU_DEP_2) | instskip(NEXT) | instid1(VALU_DEP_1)
	v_fmac_f32_e32 v11, 0xbf167918, v62
	v_fmac_f32_e32 v11, 0x3e9e377a, v45
	s_delay_alu instid0(VALU_DEP_1) | instskip(SKIP_1) | instid1(VALU_DEP_2)
	v_mul_f32_e32 v25, 0x3f167918, v11
	v_fmac_f32_e32 v28, 0x3f4f1bbd, v11
	v_fmac_f32_e32 v25, 0x3f4f1bbd, v7
	;; [unrolled: 1-line block ×3, first 2 shown]
	s_delay_alu instid0(VALU_DEP_1) | instskip(SKIP_1) | instid1(VALU_DEP_2)
	v_fmac_f32_e32 v33, 0x3f167918, v0
	v_dual_add_f32 v0, v2, v4 :: v_dual_fmac_f32 v47, 0x3f167918, v35
	v_dual_sub_f32 v2, v2, v4 :: v_dual_fmac_f32 v33, 0x3e9e377a, v3
	s_delay_alu instid0(VALU_DEP_2) | instskip(SKIP_1) | instid1(VALU_DEP_1)
	v_fmac_f32_e32 v47, 0x3e9e377a, v37
	v_fmac_f32_e32 v15, 0xbf737871, v62
	v_fmac_f32_e32 v15, 0x3f167918, v1
	v_add_f32_e32 v1, v6, v9
	v_dual_sub_f32 v3, v6, v9 :: v_dual_mul_f32 v4, 0x3e9e377a, v14
	s_delay_alu instid0(VALU_DEP_3) | instskip(SKIP_2) | instid1(VALU_DEP_2)
	v_fmac_f32_e32 v15, 0x3e9e377a, v5
	v_mul_f32_e32 v35, 0xbf737871, v8
	v_mul_f32_e32 v5, 0x3f4f1bbd, v40
	v_dual_mul_f32 v6, 0x3e9e377a, v15 :: v_dual_fmac_f32 v35, 0x3e9e377a, v26
	v_fmac_f32_e32 v43, 0x3f167918, v62
	v_fma_f32 v15, 0x3f737871, v15, -v4
	v_add_f32_e32 v4, v46, v25
	s_delay_alu instid0(VALU_DEP_4) | instskip(NEXT) | instid1(VALU_DEP_4)
	v_fma_f32 v26, 0xbf737871, v14, -v6
	v_dual_add_f32 v6, v47, v27 :: v_dual_fmac_f32 v43, 0x3e9e377a, v45
	s_delay_alu instid0(VALU_DEP_4) | instskip(SKIP_2) | instid1(VALU_DEP_4)
	v_add_f32_e32 v8, v32, v15
	v_dual_add_f32 v7, v49, v35 :: v_dual_sub_f32 v14, v46, v25
	v_sub_f32_e32 v27, v47, v27
	v_mul_f32_e32 v9, 0x3f4f1bbd, v43
	v_fma_f32 v36, 0x3f167918, v43, -v5
	v_add_f32_e32 v5, v48, v28
	v_sub_f32_e32 v32, v32, v15
	v_dual_sub_f32 v15, v48, v28 :: v_dual_sub_f32 v28, v49, v35
	v_fma_f32 v37, 0xbf167918, v40, -v9
	v_dual_add_f32 v9, v33, v26 :: v_dual_add_f32 v10, v34, v36
	v_sub_f32_e32 v25, v34, v36
	v_sub_f32_e32 v33, v33, v26
	s_delay_alu instid0(VALU_DEP_4)
	v_add_f32_e32 v11, v38, v37
	v_sub_f32_e32 v26, v38, v37
	ds_store_2addr_b64 v54, v[0:1], v[4:5] offset1:3
	ds_store_2addr_b64 v54, v[6:7], v[8:9] offset0:6 offset1:9
	ds_store_2addr_b64 v54, v[10:11], v[2:3] offset0:12 offset1:15
	;; [unrolled: 1-line block ×4, first 2 shown]
	s_waitcnt lgkmcnt(0)
	s_barrier
	buffer_gl0_inv
	ds_load_2addr_b64 v[4:7], v31 offset1:81
	ds_load_2addr_b64 v[0:3], v30 offset0:34 offset1:142
	ds_load_2addr_b64 v[8:11], v13 offset0:28 offset1:109
	ds_load_2addr_b64 v[12:15], v12 offset0:95 offset1:176
	ds_load_b64 v[27:28], v31 offset:5616
	s_and_saveexec_b32 s1, s0
	s_cbranch_execz .LBB0_23
; %bb.22:
	ds_load_b64 v[25:26], v31 offset:1944
	ds_load_b64 v[23:24], v31 offset:4104
	;; [unrolled: 1-line block ×3, first 2 shown]
.LBB0_23:
	s_or_b32 exec_lo, exec_lo, s1
	v_add_nc_u32_e32 v34, 0x51, v20
	v_mul_lo_u16 v29, 0x89, v29
	v_add_nc_u32_e32 v33, 0xa2, v20
	s_delay_alu instid0(VALU_DEP_3) | instskip(NEXT) | instid1(VALU_DEP_3)
	v_and_b32_e32 v30, 0xff, v34
	v_lshrrev_b16 v53, 12, v29
	s_delay_alu instid0(VALU_DEP_3) | instskip(NEXT) | instid1(VALU_DEP_3)
	v_and_b32_e32 v36, 0xff, v33
	v_mul_lo_u16 v29, 0x89, v30
	s_delay_alu instid0(VALU_DEP_3) | instskip(NEXT) | instid1(VALU_DEP_3)
	v_mul_lo_u16 v30, v53, 30
	v_mul_lo_u16 v37, 0x89, v36
	v_and_b32_e32 v53, 0xffff, v53
	s_delay_alu instid0(VALU_DEP_4) | instskip(NEXT) | instid1(VALU_DEP_4)
	v_lshrrev_b16 v54, 12, v29
	v_sub_nc_u16 v29, v20, v30
	s_delay_alu instid0(VALU_DEP_4) | instskip(NEXT) | instid1(VALU_DEP_4)
	v_lshrrev_b16 v55, 12, v37
	v_mul_u32_u24_e32 v53, 0x2d0, v53
	s_delay_alu instid0(VALU_DEP_4) | instskip(NEXT) | instid1(VALU_DEP_4)
	v_mul_lo_u16 v37, v54, 30
	v_and_b32_e32 v56, 0xff, v29
	s_delay_alu instid0(VALU_DEP_2) | instskip(NEXT) | instid1(VALU_DEP_2)
	v_sub_nc_u16 v37, v34, v37
	v_lshlrev_b32_e32 v38, 4, v56
	v_lshlrev_b32_e32 v56, 3, v56
	s_delay_alu instid0(VALU_DEP_3)
	v_and_b32_e32 v57, 0xff, v37
	global_load_b128 v[37:40], v38, s[8:9] offset:216
	v_add3_u32 v53, 0, v53, v56
	v_lshlrev_b32_e32 v41, 4, v57
	global_load_b128 v[41:44], v41, s[8:9] offset:216
	v_lshlrev_b32_e32 v56, 3, v57
	s_waitcnt vmcnt(1) lgkmcnt(2)
	v_dual_mul_f32 v57, v40, v9 :: v_dual_add_nc_u32 v32, 0xf3, v20
	v_mul_f32_e32 v40, v40, v8
	s_delay_alu instid0(VALU_DEP_2) | instskip(SKIP_2) | instid1(VALU_DEP_3)
	v_fma_f32 v8, v39, v8, -v57
	v_and_b32_e32 v54, 0xffff, v54
	s_waitcnt vmcnt(0)
	v_dual_fmac_f32 v40, v39, v9 :: v_dual_mul_f32 v9, v44, v11
	v_and_b32_e32 v35, 0xffff, v32
	s_delay_alu instid0(VALU_DEP_3) | instskip(SKIP_1) | instid1(VALU_DEP_4)
	v_mul_u32_u24_e32 v54, 0x2d0, v54
	v_mul_f32_e32 v39, v44, v10
	v_fma_f32 v10, v43, v10, -v9
	s_delay_alu instid0(VALU_DEP_2) | instskip(NEXT) | instid1(VALU_DEP_4)
	v_fmac_f32_e32 v39, v43, v11
	v_add3_u32 v54, 0, v54, v56
	v_mul_f32_e32 v56, v38, v3
	v_mul_f32_e32 v38, v38, v2
	v_mul_u32_u24_e32 v30, 0x8889, v35
	s_delay_alu instid0(VALU_DEP_3) | instskip(NEXT) | instid1(VALU_DEP_3)
	v_fma_f32 v2, v37, v2, -v56
	v_fmac_f32_e32 v38, v37, v3
	s_delay_alu instid0(VALU_DEP_3)
	v_lshrrev_b32_e32 v29, 20, v30
	v_mul_lo_u16 v30, v55, 30
	s_waitcnt lgkmcnt(1)
	v_mul_f32_e32 v3, v42, v13
	v_mul_f32_e32 v37, v42, v12
	v_sub_f32_e32 v59, v38, v40
	v_mul_lo_u16 v29, v29, 30
	v_sub_nc_u16 v30, v33, v30
	v_fma_f32 v12, v41, v12, -v3
	v_add_f32_e32 v60, v5, v38
	v_fmac_f32_e32 v37, v41, v13
	v_sub_nc_u16 v29, v32, v29
	v_and_b32_e32 v30, 0xff, v30
	v_add_f32_e32 v38, v38, v40
	v_sub_f32_e32 v61, v2, v8
	s_delay_alu instid0(VALU_DEP_4) | instskip(NEXT) | instid1(VALU_DEP_4)
	v_dual_add_f32 v58, v2, v8 :: v_dual_and_b32 v29, 0xffff, v29
	v_lshlrev_b32_e32 v45, 4, v30
	v_lshlrev_b32_e32 v30, 3, v30
	v_add_f32_e32 v57, v4, v2
	s_delay_alu instid0(VALU_DEP_4)
	v_lshlrev_b32_e32 v49, 4, v29
	s_clause 0x1
	global_load_b128 v[45:48], v45, s[8:9] offset:216
	global_load_b128 v[49:52], v49, s[8:9] offset:216
	v_and_b32_e32 v55, 0xffff, v55
	s_waitcnt vmcnt(0) lgkmcnt(0)
	s_barrier
	buffer_gl0_inv
	v_mul_u32_u24_e32 v55, 0x2d0, v55
	s_delay_alu instid0(VALU_DEP_1)
	v_add3_u32 v30, 0, v55, v30
	v_mul_f32_e32 v42, v46, v15
	v_mul_f32_e32 v44, v46, v14
	;; [unrolled: 1-line block ×6, first 2 shown]
	v_fma_f32 v11, v45, v14, -v42
	v_fma_f32 v13, v47, v27, -v46
	v_add_f32_e32 v27, v37, v39
	v_fma_f32 v3, -0.5, v38, v5
	v_mul_f32_e32 v56, v22, v52
	v_mul_f32_e32 v52, v21, v52
	v_fma_f32 v14, v23, v49, -v55
	s_delay_alu instid0(VALU_DEP_4)
	v_dual_fmac_f32 v48, v47, v28 :: v_dual_fmamk_f32 v9, v61, 0xbf5db3d7, v3
	v_fmac_f32_e32 v44, v45, v15
	v_fmac_f32_e32 v50, v24, v49
	;; [unrolled: 1-line block ×3, first 2 shown]
	v_fma_f32 v15, v21, v51, -v56
	v_add_f32_e32 v21, v6, v12
	v_add_f32_e32 v5, v60, v40
	v_sub_f32_e32 v23, v37, v39
	v_add_f32_e32 v43, v25, v14
	v_sub_f32_e32 v28, v12, v10
	v_add_f32_e32 v40, v1, v44
	v_add_f32_e32 v24, v7, v37
	v_dual_add_f32 v37, v11, v13 :: v_dual_fmac_f32 v52, v22, v51
	v_add_f32_e32 v41, v44, v48
	v_fma_f32 v2, -0.5, v58, v4
	v_add_f32_e32 v22, v12, v10
	v_dual_add_f32 v10, v21, v10 :: v_dual_fmac_f32 v7, -0.5, v27
	s_delay_alu instid0(VALU_DEP_4)
	v_fmac_f32_e32 v1, -0.5, v41
	v_add_f32_e32 v21, v43, v15
	v_sub_f32_e32 v42, v11, v13
	v_sub_f32_e32 v38, v44, v48
	v_add_f32_e32 v44, v14, v15
	v_dual_add_f32 v12, v0, v11 :: v_dual_add_f32 v47, v50, v52
	v_sub_f32_e32 v45, v50, v52
	v_fma_f32 v6, -0.5, v22, v6
	s_delay_alu instid0(VALU_DEP_3)
	v_dual_fmac_f32 v25, -0.5, v44 :: v_dual_add_f32 v12, v12, v13
	v_add_f32_e32 v13, v40, v48
	v_dual_add_f32 v4, v57, v8 :: v_dual_add_f32 v11, v24, v39
	v_fmamk_f32 v8, v59, 0x3f5db3d7, v2
	v_fmac_f32_e32 v2, 0xbf5db3d7, v59
	v_add_f32_e32 v46, v26, v50
	v_sub_f32_e32 v14, v14, v15
	v_fmac_f32_e32 v26, -0.5, v47
	v_fma_f32 v0, -0.5, v37, v0
	ds_store_2addr_b64 v53, v[4:5], v[8:9] offset1:30
	ds_store_b64 v53, v[2:3] offset:480
	v_fmamk_f32 v2, v23, 0x3f5db3d7, v6
	v_dual_fmac_f32 v6, 0xbf5db3d7, v23 :: v_dual_fmamk_f32 v3, v28, 0xbf5db3d7, v7
	v_fmamk_f32 v23, v45, 0x3f5db3d7, v25
	v_dual_fmac_f32 v25, 0xbf5db3d7, v45 :: v_dual_add_f32 v22, v46, v52
	v_fmamk_f32 v24, v14, 0xbf5db3d7, v26
	v_dual_fmac_f32 v26, 0x3f5db3d7, v14 :: v_dual_fmac_f32 v7, 0x3f5db3d7, v28
	v_fmamk_f32 v5, v42, 0xbf5db3d7, v1
	v_fmamk_f32 v4, v38, 0x3f5db3d7, v0
	v_fmac_f32_e32 v0, 0xbf5db3d7, v38
	v_fmac_f32_e32 v1, 0x3f5db3d7, v42
	ds_store_2addr_b64 v54, v[10:11], v[2:3] offset1:30
	ds_store_b64 v54, v[6:7] offset:480
	ds_store_2addr_b64 v30, v[12:13], v[4:5] offset1:30
	ds_store_b64 v30, v[0:1] offset:480
	s_and_saveexec_b32 s1, s0
	s_cbranch_execz .LBB0_25
; %bb.24:
	v_lshl_add_u32 v0, v29, 3, 0
	s_delay_alu instid0(VALU_DEP_1)
	v_add_nc_u32_e32 v1, 0x1000, v0
	ds_store_2addr_b64 v1, v[21:22], v[23:24] offset0:208 offset1:238
	ds_store_b64 v0, v[25:26] offset:6240
.LBB0_25:
	s_or_b32 exec_lo, exec_lo, s1
	v_add_nc_u32_e32 v0, 0x400, v31
	v_add_nc_u32_e32 v8, 0x1000, v31
	;; [unrolled: 1-line block ×3, first 2 shown]
	s_waitcnt lgkmcnt(0)
	s_barrier
	buffer_gl0_inv
	ds_load_2addr_b64 v[4:7], v31 offset1:81
	ds_load_2addr_b64 v[0:3], v0 offset0:34 offset1:142
	ds_load_2addr_b64 v[12:15], v8 offset0:28 offset1:109
	;; [unrolled: 1-line block ×3, first 2 shown]
	ds_load_b64 v[29:30], v31 offset:5616
	s_and_saveexec_b32 s1, s0
	s_cbranch_execz .LBB0_27
; %bb.26:
	ds_load_b64 v[21:22], v31 offset:1944
	ds_load_b64 v[23:24], v31 offset:4104
	;; [unrolled: 1-line block ×3, first 2 shown]
.LBB0_27:
	s_or_b32 exec_lo, exec_lo, s1
	v_add_nc_u32_e32 v27, -9, v20
	v_cmp_gt_u32_e64 s1, 9, v20
	v_mul_lo_u16 v28, 0xb7, v36
	v_dual_mov_b32 v37, 0 :: v_dual_lshlrev_b32 v36, 1, v20
	v_mul_u32_u24_e32 v35, 0x2d83, v35
	s_delay_alu instid0(VALU_DEP_4) | instskip(NEXT) | instid1(VALU_DEP_4)
	v_cndmask_b32_e64 v52, v27, v34, s1
	v_lshrrev_b16 v53, 14, v28
	s_delay_alu instid0(VALU_DEP_4) | instskip(NEXT) | instid1(VALU_DEP_4)
	v_lshlrev_b64 v[27:28], 3, v[36:37]
	v_lshrrev_b32_e32 v35, 20, v35
	s_delay_alu instid0(VALU_DEP_4) | instskip(NEXT) | instid1(VALU_DEP_4)
	v_lshlrev_b32_e32 v36, 1, v52
	v_mul_lo_u16 v38, 0x5a, v53
	s_delay_alu instid0(VALU_DEP_4) | instskip(NEXT) | instid1(VALU_DEP_3)
	v_add_co_u32 v27, s1, s8, v27
	v_lshlrev_b64 v[40:41], 3, v[36:37]
	v_add_co_ci_u32_e64 v28, s1, s9, v28, s1
	s_delay_alu instid0(VALU_DEP_4) | instskip(SKIP_1) | instid1(VALU_DEP_4)
	v_sub_nc_u16 v42, v33, v38
	v_mul_lo_u16 v35, 0x5a, v35
	v_add_co_u32 v40, s1, s8, v40
	global_load_b128 v[36:39], v[27:28], off offset:696
	v_add_co_ci_u32_e64 v41, s1, s9, v41, s1
	v_and_b32_e32 v54, 0xff, v42
	v_cmp_lt_u32_e64 s1, 8, v20
	v_sub_nc_u16 v35, v32, v35
	global_load_b128 v[40:43], v[40:41], off offset:696
	v_lshlrev_b32_e32 v52, 3, v52
	v_and_b32_e32 v53, 0xffff, v53
	v_cndmask_b32_e64 v55, 0, 0x870, s1
	v_and_b32_e32 v35, 0xffff, v35
	s_delay_alu instid0(VALU_DEP_2)
	v_add3_u32 v52, 0, v55, v52
	s_waitcnt vmcnt(1) lgkmcnt(3)
	v_mul_f32_e32 v55, v37, v3
	s_waitcnt lgkmcnt(2)
	v_dual_mul_f32 v37, v37, v2 :: v_dual_mul_f32 v56, v39, v13
	v_dual_mul_f32 v39, v39, v12 :: v_dual_lshlrev_b32 v44, 4, v54
	s_delay_alu instid0(VALU_DEP_3) | instskip(NEXT) | instid1(VALU_DEP_3)
	v_fma_f32 v2, v36, v2, -v55
	v_fmac_f32_e32 v37, v36, v3
	s_delay_alu instid0(VALU_DEP_4)
	v_fma_f32 v3, v38, v12, -v56
	s_waitcnt vmcnt(0) lgkmcnt(1)
	v_mul_f32_e32 v12, v41, v9
	v_dual_fmac_f32 v39, v38, v13 :: v_dual_lshlrev_b32 v48, 4, v35
	s_clause 0x1
	global_load_b128 v[44:47], v44, s[8:9] offset:696
	global_load_b128 v[48:51], v48, s[8:9] offset:696
	v_dual_mul_f32 v13, v41, v8 :: v_dual_lshlrev_b32 v54, 3, v54
	v_mul_f32_e32 v36, v43, v15
	v_mul_u32_u24_e32 v53, 0x870, v53
	v_dual_mul_f32 v38, v43, v14 :: v_dual_add_f32 v43, v2, v3
	v_add_f32_e32 v41, v4, v2
	v_dual_add_f32 v55, v5, v37 :: v_dual_sub_f32 v56, v2, v3
	s_delay_alu instid0(VALU_DEP_4)
	v_add3_u32 v53, 0, v53, v54
	v_sub_f32_e32 v54, v37, v39
	v_add_f32_e32 v37, v37, v39
	v_fma_f32 v12, v40, v8, -v12
	v_fma_f32 v4, -0.5, v43, v4
	v_fma_f32 v14, v42, v14, -v36
	s_waitcnt vmcnt(0) lgkmcnt(0)
	s_barrier
	buffer_gl0_inv
	v_fmac_f32_e32 v38, v42, v15
	v_fmamk_f32 v8, v54, 0x3f5db3d7, v4
	v_fmac_f32_e32 v4, 0xbf5db3d7, v54
	v_add_f32_e32 v2, v41, v3
	v_dual_mul_f32 v58, v47, v30 :: v_dual_mul_f32 v57, v45, v11
	v_dual_mul_f32 v45, v45, v10 :: v_dual_mul_f32 v60, v26, v51
	v_mul_f32_e32 v47, v47, v29
	v_mul_f32_e32 v59, v24, v49
	;; [unrolled: 1-line block ×4, first 2 shown]
	v_fma_f32 v5, -0.5, v37, v5
	v_fmac_f32_e32 v47, v46, v30
	v_fma_f32 v10, v44, v10, -v57
	v_fmac_f32_e32 v49, v24, v48
	v_add_f32_e32 v24, v6, v12
	v_fmac_f32_e32 v51, v26, v50
	v_fma_f32 v15, v46, v29, -v58
	v_fmac_f32_e32 v13, v40, v9
	v_add_f32_e32 v30, v0, v10
	s_delay_alu instid0(VALU_DEP_4)
	v_add_f32_e32 v46, v49, v51
	v_fmac_f32_e32 v45, v44, v11
	v_fma_f32 v11, v23, v48, -v59
	v_fma_f32 v23, v25, v50, -v60
	v_dual_add_f32 v25, v12, v14 :: v_dual_add_f32 v36, v10, v15
	v_dual_add_f32 v3, v55, v39 :: v_dual_sub_f32 v26, v13, v38
	s_delay_alu instid0(VALU_DEP_4)
	v_dual_add_f32 v29, v7, v13 :: v_dual_add_f32 v42, v21, v11
	v_add_f32_e32 v40, v45, v47
	v_dual_sub_f32 v48, v11, v23 :: v_dual_fmamk_f32 v9, v56, 0xbf5db3d7, v5
	v_dual_sub_f32 v44, v49, v51 :: v_dual_fmac_f32 v5, 0x3f5db3d7, v56
	v_sub_f32_e32 v12, v12, v14
	ds_store_2addr_b64 v31, v[2:3], v[8:9] offset1:90
	ds_store_b64 v31, v[4:5] offset:1440
	v_add_f32_e32 v2, v30, v15
	v_fma_f32 v6, -0.5, v25, v6
	v_add_f32_e32 v13, v13, v38
	v_sub_f32_e32 v37, v45, v47
	v_fma_f32 v0, -0.5, v36, v0
	v_dual_sub_f32 v41, v10, v15 :: v_dual_add_f32 v10, v24, v14
	v_add_f32_e32 v43, v11, v23
	v_add_f32_e32 v39, v1, v45
	;; [unrolled: 1-line block ×3, first 2 shown]
	v_dual_fmamk_f32 v4, v26, 0x3f5db3d7, v6 :: v_dual_fmac_f32 v7, -0.5, v13
	v_fmac_f32_e32 v22, -0.5, v46
	v_fmamk_f32 v8, v37, 0x3f5db3d7, v0
	v_dual_fmac_f32 v0, 0xbf5db3d7, v37 :: v_dual_fmac_f32 v21, -0.5, v43
	v_fmac_f32_e32 v6, 0xbf5db3d7, v26
	s_delay_alu instid0(VALU_DEP_4)
	v_dual_fmamk_f32 v26, v48, 0xbf5db3d7, v22 :: v_dual_fmac_f32 v1, -0.5, v40
	v_add_f32_e32 v24, v45, v51
	v_dual_add_f32 v11, v29, v38 :: v_dual_fmac_f32 v22, 0x3f5db3d7, v48
	v_add_f32_e32 v23, v42, v23
	v_fmamk_f32 v5, v12, 0xbf5db3d7, v7
	v_fmamk_f32 v25, v44, 0x3f5db3d7, v21
	v_fmac_f32_e32 v21, 0xbf5db3d7, v44
	v_fmac_f32_e32 v7, 0x3f5db3d7, v12
	v_add_f32_e32 v3, v39, v47
	v_fmamk_f32 v9, v41, 0xbf5db3d7, v1
	v_fmac_f32_e32 v1, 0x3f5db3d7, v41
	ds_store_2addr_b64 v52, v[10:11], v[4:5] offset1:90
	ds_store_b64 v52, v[6:7] offset:1440
	ds_store_2addr_b64 v53, v[2:3], v[8:9] offset1:90
	ds_store_b64 v53, v[0:1] offset:1440
	s_and_saveexec_b32 s1, s0
	s_cbranch_execz .LBB0_29
; %bb.28:
	v_lshl_add_u32 v0, v35, 3, 0
	s_delay_alu instid0(VALU_DEP_1)
	v_add_nc_u32_e32 v1, 0x1000, v0
	ds_store_2addr_b64 v1, v[23:24], v[25:26] offset0:28 offset1:118
	ds_store_b64 v0, v[21:22] offset:5760
.LBB0_29:
	s_or_b32 exec_lo, exec_lo, s1
	v_add_nc_u32_e32 v35, 0x400, v31
	v_add_nc_u32_e32 v37, 0x1000, v31
	;; [unrolled: 1-line block ×3, first 2 shown]
	s_waitcnt lgkmcnt(0)
	s_barrier
	buffer_gl0_inv
	ds_load_2addr_b64 v[4:7], v31 offset1:81
	ds_load_2addr_b64 v[0:3], v35 offset0:34 offset1:142
	ds_load_2addr_b64 v[12:15], v37 offset0:28 offset1:109
	ds_load_2addr_b64 v[8:11], v36 offset0:95 offset1:176
	ds_load_b64 v[29:30], v31 offset:5616
	s_and_saveexec_b32 s1, s0
	s_cbranch_execz .LBB0_31
; %bb.30:
	ds_load_b64 v[23:24], v31 offset:1944
	ds_load_b64 v[25:26], v31 offset:4104
	;; [unrolled: 1-line block ×3, first 2 shown]
.LBB0_31:
	s_or_b32 exec_lo, exec_lo, s1
	global_load_b128 v[38:41], v[27:28], off offset:2136
	v_dual_mov_b32 v28, 0 :: v_dual_lshlrev_b32 v27, 1, v34
	s_delay_alu instid0(VALU_DEP_1) | instskip(SKIP_1) | instid1(VALU_DEP_1)
	v_lshlrev_b64 v[42:43], 3, v[27:28]
	v_lshlrev_b32_e32 v27, 1, v33
	v_lshlrev_b64 v[46:47], 3, v[27:28]
	s_delay_alu instid0(VALU_DEP_3) | instskip(NEXT) | instid1(VALU_DEP_1)
	v_add_co_u32 v33, s1, s8, v42
	v_add_co_ci_u32_e64 v34, s1, s9, v43, s1
	global_load_b128 v[42:45], v[33:34], off offset:2136
	v_add_co_u32 v33, s1, s8, v46
	s_delay_alu instid0(VALU_DEP_1)
	v_add_co_ci_u32_e64 v34, s1, s9, v47, s1
	global_load_b128 v[46:49], v[33:34], off offset:2136
	s_waitcnt vmcnt(0) lgkmcnt(0)
	s_barrier
	buffer_gl0_inv
	v_dual_mul_f32 v27, v39, v3 :: v_dual_mul_f32 v34, v41, v13
	v_mul_f32_e32 v33, v39, v2
	s_delay_alu instid0(VALU_DEP_2) | instskip(NEXT) | instid1(VALU_DEP_2)
	v_fma_f32 v2, v38, v2, -v27
	v_fmac_f32_e32 v33, v38, v3
	s_delay_alu instid0(VALU_DEP_4) | instskip(NEXT) | instid1(VALU_DEP_3)
	v_fma_f32 v3, v40, v12, -v34
	v_dual_mul_f32 v39, v41, v12 :: v_dual_add_f32 v12, v4, v2
	s_delay_alu instid0(VALU_DEP_3) | instskip(NEXT) | instid1(VALU_DEP_2)
	v_add_f32_e32 v34, v5, v33
	v_dual_sub_f32 v38, v2, v3 :: v_dual_fmac_f32 v39, v40, v13
	v_add_f32_e32 v13, v2, v3
	s_delay_alu instid0(VALU_DEP_4) | instskip(NEXT) | instid1(VALU_DEP_2)
	v_add_f32_e32 v2, v12, v3
	v_fma_f32 v4, -0.5, v13, v4
	s_delay_alu instid0(VALU_DEP_4) | instskip(SKIP_1) | instid1(VALU_DEP_2)
	v_dual_mul_f32 v40, v45, v14 :: v_dual_add_f32 v3, v34, v39
	v_dual_mul_f32 v34, v43, v8 :: v_dual_sub_f32 v27, v33, v39
	v_fmac_f32_e32 v40, v44, v15
	s_delay_alu instid0(VALU_DEP_2) | instskip(NEXT) | instid1(VALU_DEP_3)
	v_dual_fmac_f32 v34, v42, v9 :: v_dual_add_f32 v33, v33, v39
	v_fmamk_f32 v12, v27, 0x3f5db3d7, v4
	v_fmac_f32_e32 v4, 0xbf5db3d7, v27
	s_delay_alu instid0(VALU_DEP_3) | instskip(SKIP_1) | instid1(VALU_DEP_2)
	v_fma_f32 v5, -0.5, v33, v5
	v_mul_f32_e32 v33, v43, v9
	v_fmamk_f32 v13, v38, 0xbf5db3d7, v5
	v_dual_fmac_f32 v5, 0x3f5db3d7, v38 :: v_dual_mul_f32 v38, v49, v29
	v_mul_f32_e32 v39, v45, v15
	s_delay_alu instid0(VALU_DEP_4) | instskip(NEXT) | instid1(VALU_DEP_3)
	v_fma_f32 v8, v42, v8, -v33
	v_fmac_f32_e32 v38, v48, v30
	s_delay_alu instid0(VALU_DEP_3) | instskip(SKIP_3) | instid1(VALU_DEP_4)
	v_fma_f32 v9, v44, v14, -v39
	v_mul_f32_e32 v14, v47, v11
	v_mul_f32_e32 v27, v47, v10
	;; [unrolled: 1-line block ×3, first 2 shown]
	v_dual_add_f32 v30, v7, v34 :: v_dual_add_f32 v15, v8, v9
	s_delay_alu instid0(VALU_DEP_4) | instskip(NEXT) | instid1(VALU_DEP_3)
	v_fma_f32 v10, v46, v10, -v14
	v_fma_f32 v14, v48, v29, -v33
	v_sub_f32_e32 v29, v34, v40
	v_dual_add_f32 v33, v34, v40 :: v_dual_sub_f32 v34, v8, v9
	v_fmac_f32_e32 v27, v46, v11
	v_add_f32_e32 v11, v6, v8
	v_fma_f32 v6, -0.5, v15, v6
	v_add_f32_e32 v15, v0, v10
	v_fmac_f32_e32 v7, -0.5, v33
	s_delay_alu instid0(VALU_DEP_4)
	v_dual_add_f32 v8, v11, v9 :: v_dual_add_f32 v9, v30, v40
	v_add_f32_e32 v30, v10, v14
	v_sub_f32_e32 v40, v10, v14
	v_add_f32_e32 v14, v15, v14
	v_dual_fmamk_f32 v10, v29, 0x3f5db3d7, v6 :: v_dual_sub_f32 v33, v27, v38
	v_add_f32_e32 v39, v1, v27
	v_add_f32_e32 v27, v27, v38
	v_fma_f32 v0, -0.5, v30, v0
	v_dual_fmac_f32 v6, 0xbf5db3d7, v29 :: v_dual_fmamk_f32 v11, v34, 0xbf5db3d7, v7
	v_fmac_f32_e32 v7, 0x3f5db3d7, v34
	s_delay_alu instid0(VALU_DEP_4) | instskip(SKIP_3) | instid1(VALU_DEP_4)
	v_fmac_f32_e32 v1, -0.5, v27
	v_add_f32_e32 v15, v39, v38
	v_fmamk_f32 v29, v33, 0x3f5db3d7, v0
	v_fmac_f32_e32 v0, 0xbf5db3d7, v33
	v_fmamk_f32 v30, v40, 0xbf5db3d7, v1
	v_fmac_f32_e32 v1, 0x3f5db3d7, v40
	ds_store_2addr_b64 v31, v[2:3], v[8:9] offset1:81
	ds_store_2addr_b64 v37, v[4:5], v[6:7] offset0:28 offset1:109
	ds_store_2addr_b64 v35, v[14:15], v[12:13] offset0:34 offset1:142
	;; [unrolled: 1-line block ×3, first 2 shown]
	ds_store_b64 v31, v[0:1] offset:5616
	s_and_saveexec_b32 s1, s0
	s_cbranch_execz .LBB0_33
; %bb.32:
	v_subrev_nc_u32_e32 v0, 27, v20
	s_delay_alu instid0(VALU_DEP_1) | instskip(NEXT) | instid1(VALU_DEP_1)
	v_cndmask_b32_e64 v0, v0, v32, s0
	v_lshlrev_b32_e32 v27, 1, v0
	s_delay_alu instid0(VALU_DEP_1) | instskip(NEXT) | instid1(VALU_DEP_1)
	v_lshlrev_b64 v[0:1], 3, v[27:28]
	v_add_co_u32 v0, s0, s8, v0
	s_delay_alu instid0(VALU_DEP_1) | instskip(SKIP_4) | instid1(VALU_DEP_1)
	v_add_co_ci_u32_e64 v1, s0, s9, v1, s0
	global_load_b128 v[0:3], v[0:1], off offset:2136
	s_waitcnt vmcnt(0)
	v_mul_f32_e32 v4, v26, v1
	v_mul_f32_e32 v6, v21, v3
	v_dual_mul_f32 v5, v25, v1 :: v_dual_fmac_f32 v6, v22, v2
	s_delay_alu instid0(VALU_DEP_1) | instskip(SKIP_2) | instid1(VALU_DEP_3)
	v_fmac_f32_e32 v5, v26, v0
	v_mul_f32_e32 v1, v22, v3
	v_fma_f32 v3, v25, v0, -v4
	v_add_f32_e32 v0, v5, v6
	s_delay_alu instid0(VALU_DEP_3) | instskip(NEXT) | instid1(VALU_DEP_3)
	v_fma_f32 v2, v21, v2, -v1
	v_dual_add_f32 v9, v23, v3 :: v_dual_sub_f32 v10, v5, v6
	v_add_f32_e32 v8, v24, v5
	s_delay_alu instid0(VALU_DEP_4) | instskip(NEXT) | instid1(VALU_DEP_4)
	v_fma_f32 v1, -0.5, v0, v24
	v_add_f32_e32 v7, v3, v2
	v_sub_f32_e32 v4, v3, v2
	v_add_f32_e32 v2, v9, v2
	s_delay_alu instid0(VALU_DEP_3) | instskip(NEXT) | instid1(VALU_DEP_3)
	v_fma_f32 v0, -0.5, v7, v23
	v_fmamk_f32 v5, v4, 0x3f5db3d7, v1
	v_add_f32_e32 v3, v8, v6
	s_delay_alu instid0(VALU_DEP_3)
	v_dual_fmac_f32 v1, 0xbf5db3d7, v4 :: v_dual_fmamk_f32 v4, v10, 0xbf5db3d7, v0
	v_fmac_f32_e32 v0, 0x3f5db3d7, v10
	ds_store_b64 v31, v[2:3] offset:1944
	ds_store_b64 v31, v[0:1] offset:4104
	;; [unrolled: 1-line block ×3, first 2 shown]
.LBB0_33:
	s_or_b32 exec_lo, exec_lo, s1
	s_waitcnt lgkmcnt(0)
	s_barrier
	buffer_gl0_inv
	s_and_saveexec_b32 s0, vcc_lo
	s_cbranch_execz .LBB0_35
; %bb.34:
	v_mul_lo_u32 v0, s3, v18
	v_mul_lo_u32 v1, s2, v19
	v_mad_u64_u32 v[4:5], null, s2, v18, 0
	v_dual_mov_b32 v21, 0 :: v_dual_add_nc_u32 v10, 0x51, v20
	v_lshl_add_u32 v22, v20, 3, 0
	v_lshlrev_b64 v[8:9], 3, v[16:17]
	s_delay_alu instid0(VALU_DEP_3)
	v_dual_mov_b32 v11, v21 :: v_dual_add_nc_u32 v12, 0xa2, v20
	v_add3_u32 v5, v5, v1, v0
	ds_load_2addr_b64 v[0:3], v22 offset1:81
	v_lshlrev_b64 v[16:17], 3, v[20:21]
	v_mov_b32_e32 v13, v21
	v_lshlrev_b64 v[10:11], 3, v[10:11]
	v_lshlrev_b64 v[14:15], 3, v[4:5]
	ds_load_2addr_b64 v[4:7], v22 offset0:162 offset1:243
	v_dual_mov_b32 v19, v21 :: v_dual_add_nc_u32 v18, 0x800, v22
	v_add_co_u32 v14, vcc_lo, s6, v14
	v_add_co_ci_u32_e32 v15, vcc_lo, s7, v15, vcc_lo
	s_delay_alu instid0(VALU_DEP_2) | instskip(SKIP_1) | instid1(VALU_DEP_3)
	v_add_co_u32 v24, vcc_lo, v14, v8
	v_add_nc_u32_e32 v14, 0xf3, v20
	v_add_co_ci_u32_e32 v25, vcc_lo, v15, v9, vcc_lo
	v_mov_b32_e32 v15, v21
	v_lshlrev_b64 v[8:9], 3, v[12:13]
	v_add_co_u32 v12, vcc_lo, v24, v16
	v_add_nc_u32_e32 v16, 0x144, v20
	v_add_co_ci_u32_e32 v13, vcc_lo, v25, v17, vcc_lo
	v_add_co_u32 v10, vcc_lo, v24, v10
	v_lshlrev_b64 v[14:15], 3, v[14:15]
	v_add_co_ci_u32_e32 v11, vcc_lo, v25, v11, vcc_lo
	v_add_co_u32 v8, vcc_lo, v24, v8
	v_add_co_ci_u32_e32 v9, vcc_lo, v25, v9, vcc_lo
	s_delay_alu instid0(VALU_DEP_4)
	v_add_co_u32 v14, vcc_lo, v24, v14
	v_mov_b32_e32 v17, v21
	v_add_co_ci_u32_e32 v15, vcc_lo, v25, v15, vcc_lo
	s_waitcnt lgkmcnt(1)
	s_clause 0x1
	global_store_b64 v[12:13], v[0:1], off
	global_store_b64 v[10:11], v[2:3], off
	s_waitcnt lgkmcnt(0)
	s_clause 0x1
	global_store_b64 v[8:9], v[4:5], off
	global_store_b64 v[14:15], v[6:7], off
	v_dual_mov_b32 v5, v21 :: v_dual_add_nc_u32 v4, 0x195, v20
	v_lshlrev_b64 v[16:17], 3, v[16:17]
	v_dual_mov_b32 v9, v21 :: v_dual_add_nc_u32 v8, 0x1e6, v20
	v_dual_mov_b32 v11, v21 :: v_dual_add_nc_u32 v6, 0xc00, v22
	s_delay_alu instid0(VALU_DEP_4)
	v_lshlrev_b64 v[4:5], 3, v[4:5]
	v_add_nc_u32_e32 v10, 0x237, v20
	v_add_co_u32 v12, vcc_lo, v24, v16
	v_lshlrev_b64 v[8:9], 3, v[8:9]
	v_add_co_ci_u32_e32 v13, vcc_lo, v25, v17, vcc_lo
	v_add_co_u32 v14, vcc_lo, v24, v4
	v_lshlrev_b64 v[16:17], 3, v[10:11]
	v_add_nc_u32_e32 v10, 0x1000, v22
	ds_load_2addr_b64 v[0:3], v18 offset0:68 offset1:149
	v_add_co_ci_u32_e32 v15, vcc_lo, v25, v5, vcc_lo
	ds_load_2addr_b64 v[4:7], v6 offset0:102 offset1:183
	v_add_co_u32 v22, vcc_lo, v24, v8
	v_add_nc_u32_e32 v18, 0x288, v20
	v_add_co_ci_u32_e32 v23, vcc_lo, v25, v9, vcc_lo
	ds_load_2addr_b64 v[8:11], v10 offset0:136 offset1:217
	v_add_nc_u32_e32 v20, 0x2d9, v20
	v_lshlrev_b64 v[18:19], 3, v[18:19]
	v_add_co_u32 v16, vcc_lo, v24, v16
	v_add_co_ci_u32_e32 v17, vcc_lo, v25, v17, vcc_lo
	s_delay_alu instid0(VALU_DEP_4) | instskip(NEXT) | instid1(VALU_DEP_4)
	v_lshlrev_b64 v[20:21], 3, v[20:21]
	v_add_co_u32 v18, vcc_lo, v24, v18
	v_add_co_ci_u32_e32 v19, vcc_lo, v25, v19, vcc_lo
	s_delay_alu instid0(VALU_DEP_3) | instskip(NEXT) | instid1(VALU_DEP_4)
	v_add_co_u32 v20, vcc_lo, v24, v20
	v_add_co_ci_u32_e32 v21, vcc_lo, v25, v21, vcc_lo
	s_waitcnt lgkmcnt(2)
	s_clause 0x1
	global_store_b64 v[12:13], v[0:1], off
	global_store_b64 v[14:15], v[2:3], off
	s_waitcnt lgkmcnt(1)
	s_clause 0x1
	global_store_b64 v[22:23], v[4:5], off
	global_store_b64 v[16:17], v[6:7], off
	;; [unrolled: 4-line block ×3, first 2 shown]
.LBB0_35:
	s_nop 0
	s_sendmsg sendmsg(MSG_DEALLOC_VGPRS)
	s_endpgm
	.section	.rodata,"a",@progbits
	.p2align	6, 0x0
	.amdhsa_kernel fft_rtc_fwd_len810_factors_3_10_3_3_3_wgs_81_tpt_81_halfLds_sp_op_CI_CI_unitstride_sbrr_C2R_dirReg
		.amdhsa_group_segment_fixed_size 0
		.amdhsa_private_segment_fixed_size 0
		.amdhsa_kernarg_size 104
		.amdhsa_user_sgpr_count 15
		.amdhsa_user_sgpr_dispatch_ptr 0
		.amdhsa_user_sgpr_queue_ptr 0
		.amdhsa_user_sgpr_kernarg_segment_ptr 1
		.amdhsa_user_sgpr_dispatch_id 0
		.amdhsa_user_sgpr_private_segment_size 0
		.amdhsa_wavefront_size32 1
		.amdhsa_uses_dynamic_stack 0
		.amdhsa_enable_private_segment 0
		.amdhsa_system_sgpr_workgroup_id_x 1
		.amdhsa_system_sgpr_workgroup_id_y 0
		.amdhsa_system_sgpr_workgroup_id_z 0
		.amdhsa_system_sgpr_workgroup_info 0
		.amdhsa_system_vgpr_workitem_id 0
		.amdhsa_next_free_vgpr 67
		.amdhsa_next_free_sgpr 27
		.amdhsa_reserve_vcc 1
		.amdhsa_float_round_mode_32 0
		.amdhsa_float_round_mode_16_64 0
		.amdhsa_float_denorm_mode_32 3
		.amdhsa_float_denorm_mode_16_64 3
		.amdhsa_dx10_clamp 1
		.amdhsa_ieee_mode 1
		.amdhsa_fp16_overflow 0
		.amdhsa_workgroup_processor_mode 1
		.amdhsa_memory_ordered 1
		.amdhsa_forward_progress 0
		.amdhsa_shared_vgpr_count 0
		.amdhsa_exception_fp_ieee_invalid_op 0
		.amdhsa_exception_fp_denorm_src 0
		.amdhsa_exception_fp_ieee_div_zero 0
		.amdhsa_exception_fp_ieee_overflow 0
		.amdhsa_exception_fp_ieee_underflow 0
		.amdhsa_exception_fp_ieee_inexact 0
		.amdhsa_exception_int_div_zero 0
	.end_amdhsa_kernel
	.text
.Lfunc_end0:
	.size	fft_rtc_fwd_len810_factors_3_10_3_3_3_wgs_81_tpt_81_halfLds_sp_op_CI_CI_unitstride_sbrr_C2R_dirReg, .Lfunc_end0-fft_rtc_fwd_len810_factors_3_10_3_3_3_wgs_81_tpt_81_halfLds_sp_op_CI_CI_unitstride_sbrr_C2R_dirReg
                                        ; -- End function
	.section	.AMDGPU.csdata,"",@progbits
; Kernel info:
; codeLenInByte = 8252
; NumSgprs: 29
; NumVgprs: 67
; ScratchSize: 0
; MemoryBound: 0
; FloatMode: 240
; IeeeMode: 1
; LDSByteSize: 0 bytes/workgroup (compile time only)
; SGPRBlocks: 3
; VGPRBlocks: 8
; NumSGPRsForWavesPerEU: 29
; NumVGPRsForWavesPerEU: 67
; Occupancy: 16
; WaveLimiterHint : 1
; COMPUTE_PGM_RSRC2:SCRATCH_EN: 0
; COMPUTE_PGM_RSRC2:USER_SGPR: 15
; COMPUTE_PGM_RSRC2:TRAP_HANDLER: 0
; COMPUTE_PGM_RSRC2:TGID_X_EN: 1
; COMPUTE_PGM_RSRC2:TGID_Y_EN: 0
; COMPUTE_PGM_RSRC2:TGID_Z_EN: 0
; COMPUTE_PGM_RSRC2:TIDIG_COMP_CNT: 0
	.text
	.p2alignl 7, 3214868480
	.fill 96, 4, 3214868480
	.type	__hip_cuid_1e303fd9dfffa805,@object ; @__hip_cuid_1e303fd9dfffa805
	.section	.bss,"aw",@nobits
	.globl	__hip_cuid_1e303fd9dfffa805
__hip_cuid_1e303fd9dfffa805:
	.byte	0                               ; 0x0
	.size	__hip_cuid_1e303fd9dfffa805, 1

	.ident	"AMD clang version 19.0.0git (https://github.com/RadeonOpenCompute/llvm-project roc-6.4.0 25133 c7fe45cf4b819c5991fe208aaa96edf142730f1d)"
	.section	".note.GNU-stack","",@progbits
	.addrsig
	.addrsig_sym __hip_cuid_1e303fd9dfffa805
	.amdgpu_metadata
---
amdhsa.kernels:
  - .args:
      - .actual_access:  read_only
        .address_space:  global
        .offset:         0
        .size:           8
        .value_kind:     global_buffer
      - .offset:         8
        .size:           8
        .value_kind:     by_value
      - .actual_access:  read_only
        .address_space:  global
        .offset:         16
        .size:           8
        .value_kind:     global_buffer
      - .actual_access:  read_only
        .address_space:  global
        .offset:         24
        .size:           8
        .value_kind:     global_buffer
      - .actual_access:  read_only
        .address_space:  global
        .offset:         32
        .size:           8
        .value_kind:     global_buffer
      - .offset:         40
        .size:           8
        .value_kind:     by_value
      - .actual_access:  read_only
        .address_space:  global
        .offset:         48
        .size:           8
        .value_kind:     global_buffer
      - .actual_access:  read_only
        .address_space:  global
        .offset:         56
        .size:           8
        .value_kind:     global_buffer
      - .offset:         64
        .size:           4
        .value_kind:     by_value
      - .actual_access:  read_only
        .address_space:  global
        .offset:         72
        .size:           8
        .value_kind:     global_buffer
      - .actual_access:  read_only
        .address_space:  global
        .offset:         80
        .size:           8
        .value_kind:     global_buffer
      - .actual_access:  read_only
        .address_space:  global
        .offset:         88
        .size:           8
        .value_kind:     global_buffer
      - .actual_access:  write_only
        .address_space:  global
        .offset:         96
        .size:           8
        .value_kind:     global_buffer
    .group_segment_fixed_size: 0
    .kernarg_segment_align: 8
    .kernarg_segment_size: 104
    .language:       OpenCL C
    .language_version:
      - 2
      - 0
    .max_flat_workgroup_size: 81
    .name:           fft_rtc_fwd_len810_factors_3_10_3_3_3_wgs_81_tpt_81_halfLds_sp_op_CI_CI_unitstride_sbrr_C2R_dirReg
    .private_segment_fixed_size: 0
    .sgpr_count:     29
    .sgpr_spill_count: 0
    .symbol:         fft_rtc_fwd_len810_factors_3_10_3_3_3_wgs_81_tpt_81_halfLds_sp_op_CI_CI_unitstride_sbrr_C2R_dirReg.kd
    .uniform_work_group_size: 1
    .uses_dynamic_stack: false
    .vgpr_count:     67
    .vgpr_spill_count: 0
    .wavefront_size: 32
    .workgroup_processor_mode: 1
amdhsa.target:   amdgcn-amd-amdhsa--gfx1100
amdhsa.version:
  - 1
  - 2
...

	.end_amdgpu_metadata
